;; amdgpu-corpus repo=ROCm/rocFFT kind=compiled arch=gfx1100 opt=O3
	.text
	.amdgcn_target "amdgcn-amd-amdhsa--gfx1100"
	.amdhsa_code_object_version 6
	.protected	fft_rtc_back_len80_factors_10_8_wgs_160_tpt_10_sp_op_CI_CI_sbcc_twdbase6_3step_dirReg_intrinsicReadWrite ; -- Begin function fft_rtc_back_len80_factors_10_8_wgs_160_tpt_10_sp_op_CI_CI_sbcc_twdbase6_3step_dirReg_intrinsicReadWrite
	.globl	fft_rtc_back_len80_factors_10_8_wgs_160_tpt_10_sp_op_CI_CI_sbcc_twdbase6_3step_dirReg_intrinsicReadWrite
	.p2align	8
	.type	fft_rtc_back_len80_factors_10_8_wgs_160_tpt_10_sp_op_CI_CI_sbcc_twdbase6_3step_dirReg_intrinsicReadWrite,@function
fft_rtc_back_len80_factors_10_8_wgs_160_tpt_10_sp_op_CI_CI_sbcc_twdbase6_3step_dirReg_intrinsicReadWrite: ; @fft_rtc_back_len80_factors_10_8_wgs_160_tpt_10_sp_op_CI_CI_sbcc_twdbase6_3step_dirReg_intrinsicReadWrite
; %bb.0:
	s_mov_b32 s28, s15
	s_clause 0x3
	s_load_b64 s[24:25], s[0:1], 0x0
	s_load_b256 s[4:11], s[0:1], 0x8
	s_load_b128 s[12:15], s[0:1], 0x60
	s_load_b64 s[26:27], s[0:1], 0x28
	s_mov_b32 s1, exec_lo
	v_cmpx_gt_u32_e32 0xc0, v0
	s_cbranch_execz .LBB0_3
; %bb.1:
	v_lshlrev_b32_e32 v5, 3, v0
	v_add_co_u32 v1, s0, 0xffffff60, v0
	s_delay_alu instid0(VALU_DEP_1) | instskip(SKIP_1) | instid1(VALU_DEP_3)
	v_add_co_ci_u32_e64 v2, null, 0, -1, s0
	s_waitcnt lgkmcnt(0)
	v_add_co_u32 v3, s0, s4, v5
	s_delay_alu instid0(VALU_DEP_1)
	v_add_co_ci_u32_e64 v4, null, s5, 0, s0
	v_add3_u32 v5, v5, 0, 0x2800
	s_mov_b32 s2, 0
	.p2align	6
.LBB0_2:                                ; =>This Inner Loop Header: Depth=1
	global_load_b64 v[6:7], v[3:4], off
	v_add_co_u32 v1, vcc_lo, 0xa0, v1
	v_add_co_ci_u32_e32 v2, vcc_lo, 0, v2, vcc_lo
	v_add_co_u32 v3, vcc_lo, 0x500, v3
	v_add_co_ci_u32_e32 v4, vcc_lo, 0, v4, vcc_lo
	s_delay_alu instid0(VALU_DEP_3) | instskip(NEXT) | instid1(VALU_DEP_1)
	v_cmp_lt_u64_e64 s0, 31, v[1:2]
	s_or_b32 s2, s0, s2
	s_waitcnt vmcnt(0)
	ds_store_b64 v5, v[6:7]
	v_add_nc_u32_e32 v5, 0x500, v5
	s_and_not1_b32 exec_lo, exec_lo, s2
	s_cbranch_execnz .LBB0_2
.LBB0_3:
	s_or_b32 exec_lo, exec_lo, s1
	s_waitcnt lgkmcnt(0)
	s_load_b64 s[30:31], s[8:9], 0x8
	s_mov_b32 s29, 0
	s_waitcnt lgkmcnt(0)
	s_add_u32 s0, s30, -1
	s_addc_u32 s1, s31, -1
	s_delay_alu instid0(SALU_CYCLE_1) | instskip(NEXT) | instid1(SALU_CYCLE_1)
	s_lshr_b64 s[0:1], s[0:1], 4
	s_add_u32 s0, s0, 1
	s_addc_u32 s1, s1, 0
	s_delay_alu instid0(SALU_CYCLE_1) | instskip(NEXT) | instid1(VALU_DEP_1)
	v_cmp_lt_u64_e64 s2, s[28:29], s[0:1]
	s_and_b32 vcc_lo, exec_lo, s2
	s_mov_b64 s[2:3], 0
	s_cbranch_vccnz .LBB0_5
; %bb.4:
	v_cvt_f32_u32_e32 v1, s0
	s_sub_i32 s3, 0, s0
	s_delay_alu instid0(VALU_DEP_1) | instskip(SKIP_2) | instid1(VALU_DEP_1)
	v_rcp_iflag_f32_e32 v1, v1
	s_waitcnt_depctr 0xfff
	v_mul_f32_e32 v1, 0x4f7ffffe, v1
	v_cvt_u32_f32_e32 v1, v1
	s_delay_alu instid0(VALU_DEP_1) | instskip(NEXT) | instid1(VALU_DEP_1)
	v_readfirstlane_b32 s2, v1
	s_mul_i32 s3, s3, s2
	s_delay_alu instid0(SALU_CYCLE_1) | instskip(NEXT) | instid1(SALU_CYCLE_1)
	s_mul_hi_u32 s3, s2, s3
	s_add_i32 s2, s2, s3
	s_delay_alu instid0(SALU_CYCLE_1) | instskip(NEXT) | instid1(SALU_CYCLE_1)
	s_mul_hi_u32 s2, s28, s2
	s_mul_i32 s3, s2, s0
	s_add_i32 s4, s2, 1
	s_sub_i32 s3, s28, s3
	s_delay_alu instid0(SALU_CYCLE_1)
	s_sub_i32 s5, s3, s0
	s_cmp_ge_u32 s3, s0
	s_cselect_b32 s2, s4, s2
	s_cselect_b32 s3, s5, s3
	s_add_i32 s4, s2, 1
	s_cmp_ge_u32 s3, s0
	s_mov_b32 s3, s29
	s_cselect_b32 s2, s4, s2
.LBB0_5:
	s_load_b128 s[20:23], s[10:11], 0x0
	s_load_b128 s[16:19], s[26:27], 0x0
	s_mul_i32 s4, s2, s1
	s_mul_hi_u32 s5, s2, s0
	s_waitcnt lgkmcnt(0)
	s_mul_i32 s17, s2, s0
	s_add_i32 s5, s5, s4
	s_sub_u32 s4, s28, s17
	s_subb_u32 s5, 0, s5
	s_delay_alu instid0(SALU_CYCLE_1) | instskip(SKIP_2) | instid1(VALU_DEP_1)
	v_alignbit_b32 v1, s5, s4, 28
	s_lshl_b64 s[34:35], s[4:5], 4
	v_cmp_lt_u64_e64 s4, s[6:7], 3
	s_and_b32 vcc_lo, exec_lo, s4
	s_delay_alu instid0(VALU_DEP_2)
	v_mul_lo_u32 v2, s22, v1
	v_mul_lo_u32 v1, s18, v1
	s_mul_hi_u32 s5, s22, s34
	s_mul_hi_u32 s33, s18, s34
	s_mul_i32 s21, s22, s34
	s_mul_i32 s17, s23, s34
	;; [unrolled: 1-line block ×3, first 2 shown]
	s_delay_alu instid0(VALU_DEP_2) | instskip(SKIP_1) | instid1(SALU_CYCLE_1)
	v_add_nc_u32_e32 v2, s5, v2
	s_mul_i32 s5, s18, s34
	v_dual_mov_b32 v24, s5 :: v_dual_add_nc_u32 v3, s33, v1
	s_delay_alu instid0(VALU_DEP_2) | instskip(NEXT) | instid1(VALU_DEP_2)
	v_dual_mov_b32 v1, s21 :: v_dual_add_nc_u32 v2, s17, v2
	v_add_nc_u32_e32 v3, s19, v3
	s_cbranch_vccnz .LBB0_14
; %bb.6:
	s_add_u32 s4, s26, 16
	s_addc_u32 s5, s27, 0
	s_add_u32 s36, s10, 16
	s_addc_u32 s37, s11, 0
	s_add_u32 s8, s8, 16
	s_addc_u32 s9, s9, 0
	s_mov_b64 s[38:39], 2
	s_mov_b32 s40, 0
	s_branch .LBB0_8
.LBB0_7:                                ;   in Loop: Header=BB0_8 Depth=1
	s_load_b64 s[46:47], s[36:37], 0x0
	s_load_b64 s[48:49], s[4:5], 0x0
	s_mul_i32 s1, s42, s1
	s_mul_hi_u32 s17, s42, s0
	s_mul_i32 s21, s44, s43
	s_mul_hi_u32 s33, s44, s42
	s_mul_i32 s19, s43, s0
	s_mul_i32 s41, s45, s42
	s_add_i32 s1, s17, s1
	s_add_i32 s17, s33, s21
	s_mul_i32 s43, s44, s42
	s_add_i32 s1, s1, s19
	s_add_i32 s17, s17, s41
	s_sub_u32 s2, s2, s43
	s_subb_u32 s3, s3, s17
	s_mul_i32 s0, s42, s0
	s_waitcnt lgkmcnt(0)
	s_mul_i32 s17, s46, s3
	s_mul_hi_u32 s19, s46, s2
	s_mul_i32 s3, s48, s3
	s_mul_hi_u32 s41, s48, s2
	s_mul_i32 s21, s47, s2
	s_add_i32 s17, s19, s17
	s_add_i32 s3, s41, s3
	s_mul_i32 s19, s49, s2
	s_mul_i32 s33, s46, s2
	s_add_i32 s17, s17, s21
	s_add_i32 s3, s3, s19
	v_add_co_u32 v1, vcc_lo, s33, v1
	s_add_u32 s38, s38, 1
	s_mul_i32 s2, s48, s2
	s_addc_u32 s39, s39, 0
	v_add_co_ci_u32_e32 v2, vcc_lo, s17, v2, vcc_lo
	v_add_co_u32 v24, vcc_lo, s2, v24
	v_cmp_ge_u64_e64 s2, s[38:39], s[6:7]
	s_add_u32 s4, s4, 8
	s_addc_u32 s5, s5, 0
	v_add_co_ci_u32_e32 v3, vcc_lo, s3, v3, vcc_lo
	s_add_u32 s36, s36, 8
	s_addc_u32 s37, s37, 0
	s_add_u32 s8, s8, 8
	s_addc_u32 s9, s9, 0
	s_and_b32 vcc_lo, exec_lo, s2
	s_mov_b64 s[2:3], s[44:45]
	s_cbranch_vccnz .LBB0_12
.LBB0_8:                                ; =>This Inner Loop Header: Depth=1
	s_load_b64 s[42:43], s[8:9], 0x0
	s_mov_b32 s17, -1
	s_waitcnt lgkmcnt(0)
	s_or_b64 s[44:45], s[2:3], s[42:43]
	s_delay_alu instid0(SALU_CYCLE_1) | instskip(NEXT) | instid1(SALU_CYCLE_1)
	s_mov_b32 s41, s45
                                        ; implicit-def: $sgpr44_sgpr45
	s_cmp_lg_u64 s[40:41], 0
	s_cbranch_scc0 .LBB0_10
; %bb.9:                                ;   in Loop: Header=BB0_8 Depth=1
	v_cvt_f32_u32_e32 v4, s42
	v_cvt_f32_u32_e32 v5, s43
	s_sub_u32 s21, 0, s42
	s_subb_u32 s33, 0, s43
	s_delay_alu instid0(VALU_DEP_1) | instskip(NEXT) | instid1(VALU_DEP_1)
	v_fmac_f32_e32 v4, 0x4f800000, v5
	v_rcp_f32_e32 v4, v4
	s_waitcnt_depctr 0xfff
	v_mul_f32_e32 v4, 0x5f7ffffc, v4
	s_delay_alu instid0(VALU_DEP_1) | instskip(NEXT) | instid1(VALU_DEP_1)
	v_mul_f32_e32 v5, 0x2f800000, v4
	v_trunc_f32_e32 v5, v5
	s_delay_alu instid0(VALU_DEP_1) | instskip(SKIP_1) | instid1(VALU_DEP_2)
	v_fmac_f32_e32 v4, 0xcf800000, v5
	v_cvt_u32_f32_e32 v5, v5
	v_cvt_u32_f32_e32 v4, v4
	s_delay_alu instid0(VALU_DEP_2) | instskip(NEXT) | instid1(VALU_DEP_2)
	v_readfirstlane_b32 s17, v5
	v_readfirstlane_b32 s19, v4
	s_delay_alu instid0(VALU_DEP_2) | instskip(NEXT) | instid1(VALU_DEP_1)
	s_mul_i32 s41, s21, s17
	s_mul_hi_u32 s45, s21, s19
	s_mul_i32 s44, s33, s19
	s_add_i32 s41, s45, s41
	s_mul_i32 s46, s21, s19
	s_add_i32 s41, s41, s44
	s_mul_hi_u32 s45, s19, s46
	s_mul_hi_u32 s47, s17, s46
	s_mul_i32 s44, s17, s46
	s_mul_hi_u32 s46, s19, s41
	s_mul_i32 s19, s19, s41
	s_mul_hi_u32 s48, s17, s41
	s_add_u32 s19, s45, s19
	s_addc_u32 s45, 0, s46
	s_add_u32 s19, s19, s44
	s_mul_i32 s41, s17, s41
	s_addc_u32 s19, s45, s47
	s_addc_u32 s44, s48, 0
	s_add_u32 s19, s19, s41
	s_addc_u32 s41, 0, s44
	v_add_co_u32 v4, s19, v4, s19
	s_delay_alu instid0(VALU_DEP_1) | instskip(SKIP_1) | instid1(VALU_DEP_1)
	s_cmp_lg_u32 s19, 0
	s_addc_u32 s17, s17, s41
	v_readfirstlane_b32 s19, v4
	s_mul_i32 s41, s21, s17
	s_delay_alu instid0(VALU_DEP_1)
	s_mul_hi_u32 s44, s21, s19
	s_mul_i32 s33, s33, s19
	s_add_i32 s41, s44, s41
	s_mul_i32 s21, s21, s19
	s_add_i32 s41, s41, s33
	s_mul_hi_u32 s44, s17, s21
	s_mul_i32 s45, s17, s21
	s_mul_hi_u32 s21, s19, s21
	s_mul_hi_u32 s46, s19, s41
	s_mul_i32 s19, s19, s41
	s_mul_hi_u32 s33, s17, s41
	s_add_u32 s19, s21, s19
	s_addc_u32 s21, 0, s46
	s_add_u32 s19, s19, s45
	s_mul_i32 s41, s17, s41
	s_addc_u32 s19, s21, s44
	s_addc_u32 s21, s33, 0
	s_add_u32 s19, s19, s41
	s_addc_u32 s21, 0, s21
	v_add_co_u32 v4, s19, v4, s19
	s_delay_alu instid0(VALU_DEP_1) | instskip(SKIP_1) | instid1(VALU_DEP_1)
	s_cmp_lg_u32 s19, 0
	s_addc_u32 s17, s17, s21
	v_readfirstlane_b32 s19, v4
	s_mul_i32 s33, s2, s17
	s_mul_hi_u32 s21, s2, s17
	s_mul_hi_u32 s41, s3, s17
	s_mul_i32 s17, s3, s17
	s_mul_hi_u32 s44, s2, s19
	s_mul_hi_u32 s45, s3, s19
	s_mul_i32 s19, s3, s19
	s_add_u32 s33, s44, s33
	s_addc_u32 s21, 0, s21
	s_add_u32 s19, s33, s19
	s_addc_u32 s19, s21, s45
	s_addc_u32 s21, s41, 0
	s_add_u32 s19, s19, s17
	s_addc_u32 s21, 0, s21
	s_mul_hi_u32 s17, s42, s19
	s_mul_i32 s41, s42, s21
	s_mul_i32 s44, s42, s19
	s_add_i32 s17, s17, s41
	v_sub_co_u32 v4, s41, s2, s44
	s_mul_i32 s33, s43, s19
	s_delay_alu instid0(SALU_CYCLE_1) | instskip(NEXT) | instid1(VALU_DEP_1)
	s_add_i32 s17, s17, s33
	v_sub_co_u32 v5, s44, v4, s42
	s_sub_i32 s33, s3, s17
	s_cmp_lg_u32 s41, 0
	s_subb_u32 s33, s33, s43
	s_cmp_lg_u32 s44, 0
	v_readfirstlane_b32 s44, v5
	s_subb_u32 s33, s33, 0
	s_delay_alu instid0(SALU_CYCLE_1) | instskip(SKIP_1) | instid1(VALU_DEP_1)
	s_cmp_ge_u32 s33, s43
	s_cselect_b32 s45, -1, 0
	s_cmp_ge_u32 s44, s42
	s_cselect_b32 s44, -1, 0
	s_cmp_eq_u32 s33, s43
	s_cselect_b32 s33, s44, s45
	s_add_u32 s44, s19, 1
	s_addc_u32 s45, s21, 0
	s_add_u32 s46, s19, 2
	s_addc_u32 s47, s21, 0
	s_cmp_lg_u32 s33, 0
	s_cselect_b32 s33, s46, s44
	s_cselect_b32 s44, s47, s45
	s_cmp_lg_u32 s41, 0
	v_readfirstlane_b32 s41, v4
	s_subb_u32 s17, s3, s17
	s_delay_alu instid0(SALU_CYCLE_1) | instskip(SKIP_1) | instid1(VALU_DEP_1)
	s_cmp_ge_u32 s17, s43
	s_cselect_b32 s45, -1, 0
	s_cmp_ge_u32 s41, s42
	s_cselect_b32 s41, -1, 0
	s_cmp_eq_u32 s17, s43
	s_cselect_b32 s17, s41, s45
	s_delay_alu instid0(SALU_CYCLE_1)
	s_cmp_lg_u32 s17, 0
	s_mov_b32 s17, 0
	s_cselect_b32 s45, s44, s21
	s_cselect_b32 s44, s33, s19
.LBB0_10:                               ;   in Loop: Header=BB0_8 Depth=1
	s_and_not1_b32 vcc_lo, exec_lo, s17
	s_cbranch_vccnz .LBB0_7
; %bb.11:                               ;   in Loop: Header=BB0_8 Depth=1
	v_cvt_f32_u32_e32 v4, s42
	s_sub_i32 s19, 0, s42
	s_mov_b32 s45, s40
	s_delay_alu instid0(VALU_DEP_1) | instskip(SKIP_2) | instid1(VALU_DEP_1)
	v_rcp_iflag_f32_e32 v4, v4
	s_waitcnt_depctr 0xfff
	v_mul_f32_e32 v4, 0x4f7ffffe, v4
	v_cvt_u32_f32_e32 v4, v4
	s_delay_alu instid0(VALU_DEP_1) | instskip(NEXT) | instid1(VALU_DEP_1)
	v_readfirstlane_b32 s17, v4
	s_mul_i32 s19, s19, s17
	s_delay_alu instid0(SALU_CYCLE_1) | instskip(NEXT) | instid1(SALU_CYCLE_1)
	s_mul_hi_u32 s19, s17, s19
	s_add_i32 s17, s17, s19
	s_delay_alu instid0(SALU_CYCLE_1) | instskip(NEXT) | instid1(SALU_CYCLE_1)
	s_mul_hi_u32 s17, s2, s17
	s_mul_i32 s19, s17, s42
	s_add_i32 s21, s17, 1
	s_sub_i32 s19, s2, s19
	s_delay_alu instid0(SALU_CYCLE_1)
	s_sub_i32 s33, s19, s42
	s_cmp_ge_u32 s19, s42
	s_cselect_b32 s17, s21, s17
	s_cselect_b32 s19, s33, s19
	s_add_i32 s21, s17, 1
	s_cmp_ge_u32 s19, s42
	s_cselect_b32 s44, s21, s17
	s_branch .LBB0_7
.LBB0_12:
	v_cmp_lt_u64_e64 s1, s[28:29], s[0:1]
	s_mov_b64 s[2:3], 0
	s_delay_alu instid0(VALU_DEP_1)
	s_and_b32 vcc_lo, exec_lo, s1
	s_cbranch_vccnz .LBB0_14
; %bb.13:
	v_cvt_f32_u32_e32 v2, s0
	s_sub_i32 s2, 0, s0
	s_delay_alu instid0(VALU_DEP_1) | instskip(SKIP_2) | instid1(VALU_DEP_1)
	v_rcp_iflag_f32_e32 v2, v2
	s_waitcnt_depctr 0xfff
	v_mul_f32_e32 v2, 0x4f7ffffe, v2
	v_cvt_u32_f32_e32 v2, v2
	s_delay_alu instid0(VALU_DEP_1) | instskip(NEXT) | instid1(VALU_DEP_1)
	v_readfirstlane_b32 s1, v2
	s_mul_i32 s2, s2, s1
	s_delay_alu instid0(SALU_CYCLE_1) | instskip(NEXT) | instid1(SALU_CYCLE_1)
	s_mul_hi_u32 s2, s1, s2
	s_add_i32 s1, s1, s2
	s_delay_alu instid0(SALU_CYCLE_1) | instskip(NEXT) | instid1(SALU_CYCLE_1)
	s_mul_hi_u32 s1, s28, s1
	s_mul_i32 s2, s1, s0
	s_add_i32 s3, s1, 1
	s_sub_i32 s2, s28, s2
	s_delay_alu instid0(SALU_CYCLE_1)
	s_sub_i32 s4, s2, s0
	s_cmp_ge_u32 s2, s0
	s_cselect_b32 s1, s3, s1
	s_cselect_b32 s2, s4, s2
	s_add_i32 s3, s1, 1
	s_cmp_ge_u32 s2, s0
	s_cselect_b32 s2, s3, s1
.LBB0_14:
	v_dual_mov_b32 v14, s35 :: v_dual_and_b32 v25, 15, v0
	s_lshl_b64 s[0:1], s[6:7], 3
	v_cmp_gt_u32_e32 vcc_lo, 0x80, v0
	s_add_u32 s6, s10, s0
	s_delay_alu instid0(VALU_DEP_2)
	v_or_b32_e32 v13, s34, v25
	s_addc_u32 s7, s11, s1
	s_add_u32 s4, s26, s0
	s_load_b64 s[6:7], s[6:7], 0x0
	s_addc_u32 s5, s27, s1
	s_add_u32 s0, s34, 16
	v_cndmask_b32_e64 v2, 0, 1, vcc_lo
	v_cmp_gt_u64_e32 vcc_lo, s[30:31], v[13:14]
	s_addc_u32 s1, s35, 0
	v_mad_u64_u32 v[22:23], null, s22, v25, 0
	v_cmp_le_u64_e64 s3, s[0:1], s[30:31]
	v_cmp_lt_u32_e64 s0, 0x7f, v0
	v_cndmask_b32_e64 v3, 0, 1, vcc_lo
	v_lshrrev_b32_e32 v26, 4, v0
	s_delay_alu instid0(VALU_DEP_3)
	s_or_b32 s0, s0, s3
	s_delay_alu instid0(VALU_DEP_2) | instid1(SALU_CYCLE_1)
	v_cndmask_b32_e64 v4, v3, v2, s0
	v_dual_mov_b32 v2, 0 :: v_dual_mov_b32 v3, v23
	s_waitcnt lgkmcnt(0)
	s_mul_i32 s0, s6, s2
	s_delay_alu instid0(VALU_DEP_2) | instskip(SKIP_3) | instid1(VALU_DEP_4)
	v_and_b32_e32 v6, 1, v4
	v_add_co_u32 v23, null, s0, v1
	v_mad_u64_u32 v[4:5], null, s23, v25, v[3:4]
	v_mov_b32_e32 v3, 0
	v_cmp_eq_u32_e64 s0, 1, v6
	v_mov_b32_e32 v4, 0
	s_delay_alu instid0(VALU_DEP_2)
	s_and_saveexec_b32 s6, s0
	s_cbranch_execz .LBB0_16
; %bb.15:
	v_mul_lo_u32 v1, s20, v26
	s_delay_alu instid0(VALU_DEP_1) | instskip(NEXT) | instid1(VALU_DEP_1)
	v_add3_u32 v1, v23, v22, v1
	v_lshlrev_b64 v[3:4], 3, v[1:2]
	s_delay_alu instid0(VALU_DEP_1) | instskip(NEXT) | instid1(VALU_DEP_1)
	v_add_co_u32 v3, s1, s12, v3
	v_add_co_ci_u32_e64 v4, s1, s13, v4, s1
	global_load_b64 v[3:4], v[3:4], off
.LBB0_16:
	s_or_b32 exec_lo, exec_lo, s6
	v_mov_b32_e32 v1, 0
	s_and_saveexec_b32 s6, s0
	s_cbranch_execz .LBB0_18
; %bb.17:
	v_dual_mov_b32 v2, 0 :: v_dual_add_nc_u32 v1, 8, v26
	s_delay_alu instid0(VALU_DEP_1) | instskip(NEXT) | instid1(VALU_DEP_1)
	v_mul_lo_u32 v1, s20, v1
	v_add3_u32 v1, v23, v22, v1
	s_delay_alu instid0(VALU_DEP_1) | instskip(NEXT) | instid1(VALU_DEP_1)
	v_lshlrev_b64 v[1:2], 3, v[1:2]
	v_add_co_u32 v1, s1, s12, v1
	s_delay_alu instid0(VALU_DEP_1)
	v_add_co_ci_u32_e64 v2, s1, s13, v2, s1
	global_load_b64 v[1:2], v[1:2], off
.LBB0_18:
	s_or_b32 exec_lo, exec_lo, s6
	v_dual_mov_b32 v6, 0 :: v_dual_mov_b32 v7, 0
	v_mov_b32_e32 v8, 0
	s_and_saveexec_b32 s6, s0
	s_cbranch_execz .LBB0_20
; %bb.19:
	v_or_b32_e32 v5, 16, v26
	v_mov_b32_e32 v8, 0
	s_delay_alu instid0(VALU_DEP_2) | instskip(NEXT) | instid1(VALU_DEP_1)
	v_mul_lo_u32 v5, s20, v5
	v_add3_u32 v7, v23, v22, v5
	s_delay_alu instid0(VALU_DEP_1) | instskip(NEXT) | instid1(VALU_DEP_1)
	v_lshlrev_b64 v[7:8], 3, v[7:8]
	v_add_co_u32 v7, s1, s12, v7
	s_delay_alu instid0(VALU_DEP_1)
	v_add_co_ci_u32_e64 v8, s1, s13, v8, s1
	global_load_b64 v[7:8], v[7:8], off
.LBB0_20:
	s_or_b32 exec_lo, exec_lo, s6
	v_mov_b32_e32 v5, 0
	s_and_saveexec_b32 s6, s0
	s_cbranch_execz .LBB0_22
; %bb.21:
	v_dual_mov_b32 v6, 0 :: v_dual_add_nc_u32 v5, 24, v26
	s_delay_alu instid0(VALU_DEP_1) | instskip(NEXT) | instid1(VALU_DEP_1)
	v_mul_lo_u32 v5, s20, v5
	v_add3_u32 v5, v23, v22, v5
	s_delay_alu instid0(VALU_DEP_1) | instskip(NEXT) | instid1(VALU_DEP_1)
	v_lshlrev_b64 v[5:6], 3, v[5:6]
	v_add_co_u32 v5, s1, s12, v5
	s_delay_alu instid0(VALU_DEP_1)
	v_add_co_ci_u32_e64 v6, s1, s13, v6, s1
	global_load_b64 v[5:6], v[5:6], off
.LBB0_22:
	s_or_b32 exec_lo, exec_lo, s6
	v_dual_mov_b32 v10, 0 :: v_dual_mov_b32 v11, 0
	v_mov_b32_e32 v12, 0
	s_and_saveexec_b32 s6, s0
	s_cbranch_execz .LBB0_24
; %bb.23:
	v_or_b32_e32 v9, 32, v26
	v_mov_b32_e32 v12, 0
	s_delay_alu instid0(VALU_DEP_2) | instskip(NEXT) | instid1(VALU_DEP_1)
	v_mul_lo_u32 v9, s20, v9
	v_add3_u32 v11, v23, v22, v9
	s_delay_alu instid0(VALU_DEP_1) | instskip(NEXT) | instid1(VALU_DEP_1)
	v_lshlrev_b64 v[11:12], 3, v[11:12]
	v_add_co_u32 v11, s1, s12, v11
	s_delay_alu instid0(VALU_DEP_1)
	v_add_co_ci_u32_e64 v12, s1, s13, v12, s1
	global_load_b64 v[11:12], v[11:12], off
.LBB0_24:
	;; [unrolled: 34-line block ×4, first 2 shown]
	s_or_b32 exec_lo, exec_lo, s6
	v_mov_b32_e32 v18, 0
	s_and_saveexec_b32 s1, s0
	s_cbranch_execz .LBB0_34
; %bb.33:
	v_dual_mov_b32 v19, 0 :: v_dual_add_nc_u32 v18, 0x48, v26
	s_delay_alu instid0(VALU_DEP_1) | instskip(NEXT) | instid1(VALU_DEP_1)
	v_mul_lo_u32 v18, s20, v18
	v_add3_u32 v18, v23, v22, v18
	s_delay_alu instid0(VALU_DEP_1) | instskip(NEXT) | instid1(VALU_DEP_1)
	v_lshlrev_b64 v[18:19], 3, v[18:19]
	v_add_co_u32 v18, s0, s12, v18
	s_delay_alu instid0(VALU_DEP_1)
	v_add_co_ci_u32_e64 v19, s0, s13, v19, s0
	global_load_b64 v[18:19], v[18:19], off
.LBB0_34:
	s_or_b32 exec_lo, exec_lo, s1
	v_lshlrev_b32_e32 v22, 3, v25
	s_mov_b32 s1, exec_lo
	v_cmpx_gt_u32_e32 0x80, v0
	s_cbranch_execz .LBB0_36
; %bb.35:
	s_waitcnt vmcnt(0)
	v_dual_add_f32 v29, v10, v15 :: v_dual_sub_f32 v32, v5, v9
	v_dual_add_f32 v23, v12, v17 :: v_dual_add_f32 v30, v9, v14
	v_dual_sub_f32 v33, v5, v18 :: v_dual_sub_f32 v36, v19, v15
	s_delay_alu instid0(VALU_DEP_3) | instskip(NEXT) | instid1(VALU_DEP_3)
	v_fma_f32 v29, -0.5, v29, v2
	v_fma_f32 v23, -0.5, v23, v4
	v_sub_f32_e32 v31, v7, v20
	v_fma_f32 v34, -0.5, v30, v1
	v_sub_f32_e32 v30, v6, v19
	v_sub_f32_e32 v35, v6, v10
	v_dual_fmamk_f32 v37, v33, 0xbf737871, v29 :: v_dual_sub_f32 v42, v11, v16
	v_dual_sub_f32 v38, v9, v14 :: v_dual_sub_f32 v41, v10, v15
	s_delay_alu instid0(VALU_DEP_3) | instskip(SKIP_1) | instid1(VALU_DEP_3)
	v_dual_fmamk_f32 v40, v30, 0x3f737871, v34 :: v_dual_add_f32 v35, v35, v36
	v_sub_f32_e32 v39, v18, v14
	v_fmac_f32_e32 v37, 0xbf167918, v38
	v_fmamk_f32 v36, v31, 0xbf737871, v23
	s_delay_alu instid0(VALU_DEP_4) | instskip(NEXT) | instid1(VALU_DEP_4)
	v_dual_fmac_f32 v40, 0x3f167918, v41 :: v_dual_sub_f32 v27, v8, v12
	v_dual_sub_f32 v28, v21, v17 :: v_dual_add_f32 v39, v32, v39
	s_delay_alu instid0(VALU_DEP_3) | instskip(SKIP_2) | instid1(VALU_DEP_4)
	v_fmac_f32_e32 v36, 0xbf167918, v42
	v_dual_sub_f32 v32, v12, v8 :: v_dual_fmac_f32 v37, 0x3e9e377a, v35
	v_add_f32_e32 v44, v8, v21
	v_dual_add_f32 v46, v5, v18 :: v_dual_add_f32 v27, v27, v28
	v_fmac_f32_e32 v40, 0x3e9e377a, v39
	s_delay_alu instid0(VALU_DEP_4) | instskip(SKIP_1) | instid1(VALU_DEP_4)
	v_mul_f32_e32 v43, 0xbf4f1bbd, v37
	v_sub_f32_e32 v48, v9, v5
	v_fma_f32 v46, -0.5, v46, v1
	v_sub_f32_e32 v52, v14, v18
	v_dual_fmac_f32 v36, 0x3e9e377a, v27 :: v_dual_sub_f32 v47, v17, v21
	v_fmac_f32_e32 v43, 0x3f167918, v40
	s_delay_alu instid0(VALU_DEP_4) | instskip(NEXT) | instid1(VALU_DEP_4)
	v_fmamk_f32 v53, v41, 0xbf737871, v46
	v_dual_add_f32 v45, v6, v19 :: v_dual_add_f32 v48, v48, v52
	v_fma_f32 v44, -0.5, v44, v4
	s_delay_alu instid0(VALU_DEP_4) | instskip(NEXT) | instid1(VALU_DEP_3)
	v_dual_sub_f32 v28, v36, v43 :: v_dual_sub_f32 v49, v10, v6
	v_fma_f32 v45, -0.5, v45, v2
	v_sub_f32_e32 v50, v15, v19
	v_dual_fmac_f32 v46, 0x3f737871, v41 :: v_dual_fmac_f32 v23, 0x3f737871, v31
	s_delay_alu instid0(VALU_DEP_3) | instskip(NEXT) | instid1(VALU_DEP_3)
	v_dual_add_f32 v32, v32, v47 :: v_dual_fmamk_f32 v51, v38, 0x3f737871, v45
	v_dual_fmamk_f32 v54, v42, 0x3f737871, v44 :: v_dual_add_f32 v49, v49, v50
	v_fmac_f32_e32 v44, 0xbf737871, v42
	v_fmac_f32_e32 v53, 0x3f167918, v30
	s_delay_alu instid0(VALU_DEP_3) | instskip(SKIP_1) | instid1(VALU_DEP_4)
	v_dual_fmac_f32 v51, 0xbf167918, v33 :: v_dual_fmac_f32 v54, 0xbf167918, v31
	v_fmac_f32_e32 v46, 0xbf167918, v30
	v_dual_fmac_f32 v44, 0x3f167918, v31 :: v_dual_add_f32 v31, v11, v16
	s_delay_alu instid0(VALU_DEP_3) | instskip(SKIP_1) | instid1(VALU_DEP_3)
	v_dual_fmac_f32 v51, 0x3e9e377a, v49 :: v_dual_fmac_f32 v54, 0x3e9e377a, v32
	v_add_f32_e32 v2, v2, v6
	v_fmac_f32_e32 v44, 0x3e9e377a, v32
	v_fmac_f32_e32 v45, 0xbf737871, v38
	;; [unrolled: 1-line block ×3, first 2 shown]
	v_dual_mul_f32 v47, 0xbe9e377a, v51 :: v_dual_add_f32 v4, v4, v8
	v_dual_fmac_f32 v29, 0x3f737871, v33 :: v_dual_add_f32 v2, v2, v10
	s_delay_alu instid0(VALU_DEP_4) | instskip(NEXT) | instid1(VALU_DEP_3)
	v_fmac_f32_e32 v45, 0x3f167918, v33
	v_dual_fmac_f32 v47, 0x3f737871, v53 :: v_dual_add_f32 v4, v4, v12
	s_delay_alu instid0(VALU_DEP_3) | instskip(SKIP_4) | instid1(VALU_DEP_4)
	v_fmac_f32_e32 v29, 0x3f167918, v38
	v_dual_fmac_f32 v23, 0x3f167918, v42 :: v_dual_sub_f32 v12, v12, v17
	v_add_f32_e32 v2, v2, v15
	v_dual_fmac_f32 v34, 0xbf737871, v30 :: v_dual_add_f32 v15, v7, v20
	v_dual_fmac_f32 v46, 0x3e9e377a, v48 :: v_dual_fmac_f32 v45, 0x3e9e377a, v49
	v_dual_fmac_f32 v23, 0x3e9e377a, v27 :: v_dual_add_f32 v4, v4, v17
	v_fma_f32 v38, -0.5, v31, v3
	s_delay_alu instid0(VALU_DEP_3) | instskip(SKIP_4) | instid1(VALU_DEP_3)
	v_dual_mul_f32 v33, 0x3f737871, v46 :: v_dual_sub_f32 v6, v8, v21
	v_sub_f32_e32 v8, v7, v11
	v_dual_fmac_f32 v29, 0x3e9e377a, v35 :: v_dual_sub_f32 v10, v20, v16
	v_dual_add_f32 v19, v2, v19 :: v_dual_fmac_f32 v34, 0xbf167918, v41
	v_add_f32_e32 v17, v4, v21
	v_dual_mul_f32 v35, 0x3f4f1bbd, v29 :: v_dual_add_f32 v8, v8, v10
	v_fma_f32 v21, -0.5, v15, v3
	s_delay_alu instid0(VALU_DEP_4) | instskip(SKIP_3) | instid1(VALU_DEP_3)
	v_dual_sub_f32 v15, v16, v20 :: v_dual_fmac_f32 v34, 0x3e9e377a, v39
	v_fmamk_f32 v39, v6, 0x3f737871, v38
	v_dual_mul_f32 v37, 0xbf167918, v37 :: v_dual_sub_f32 v4, v17, v19
	v_dual_fmac_f32 v33, 0x3e9e377a, v45 :: v_dual_sub_f32 v10, v11, v7
	v_fmac_f32_e32 v39, 0x3f167918, v12
	v_fmamk_f32 v41, v12, 0xbf737871, v21
	s_delay_alu instid0(VALU_DEP_4)
	v_fmac_f32_e32 v37, 0xbf4f1bbd, v40
	v_fmac_f32_e32 v21, 0x3f737871, v12
	v_dual_add_f32 v3, v3, v7 :: v_dual_fmac_f32 v38, 0xbf737871, v6
	v_fmac_f32_e32 v39, 0x3e9e377a, v8
	v_fmac_f32_e32 v35, 0x3f167918, v34
	v_dual_add_f32 v1, v1, v5 :: v_dual_sub_f32 v30, v54, v47
	s_delay_alu instid0(VALU_DEP_4)
	v_fmac_f32_e32 v38, 0xbf167918, v12
	v_dual_add_f32 v10, v10, v15 :: v_dual_fmac_f32 v41, 0x3f167918, v6
	v_mul_f32_e32 v40, 0xbf737871, v51
	v_fmac_f32_e32 v21, 0xbf167918, v6
	v_add_f32_e32 v3, v3, v11
	v_dual_add_f32 v1, v1, v9 :: v_dual_fmac_f32 v38, 0x3e9e377a, v8
	v_dual_add_f32 v6, v36, v43 :: v_dual_sub_f32 v27, v39, v37
	s_delay_alu instid0(VALU_DEP_3) | instskip(NEXT) | instid1(VALU_DEP_3)
	v_dual_fmac_f32 v40, 0xbe9e377a, v53 :: v_dual_add_f32 v3, v3, v16
	v_dual_add_f32 v1, v1, v14 :: v_dual_mul_f32 v16, 0xbf167918, v29
	v_mul_u32_u24_e32 v7, 0xa0, v26
	v_dual_mul_f32 v5, 0xbf737871, v45 :: v_dual_add_f32 v8, v54, v47
	s_delay_alu instid0(VALU_DEP_3) | instskip(NEXT) | instid1(VALU_DEP_4)
	v_add_f32_e32 v1, v1, v18
	v_fmac_f32_e32 v16, 0x3f4f1bbd, v34
	s_delay_alu instid0(VALU_DEP_4) | instskip(SKIP_2) | instid1(VALU_DEP_3)
	v_dual_add_f32 v9, v3, v20 :: v_dual_lshlrev_b32 v18, 3, v7
	v_dual_fmac_f32 v41, 0x3e9e377a, v10 :: v_dual_add_f32 v12, v23, v35
	v_fmac_f32_e32 v21, 0x3e9e377a, v10
	v_dual_fmac_f32 v5, 0x3e9e377a, v46 :: v_dual_add_f32 v14, v9, v1
	v_add_f32_e32 v15, v17, v19
	v_add_f32_e32 v11, v38, v16
	v_add3_u32 v17, 0, v18, v22
	v_sub_f32_e32 v3, v9, v1
	v_dual_add_f32 v10, v44, v33 :: v_dual_add_f32 v7, v41, v40
	v_add_f32_e32 v9, v21, v5
	v_sub_f32_e32 v31, v21, v5
	v_add_f32_e32 v5, v39, v37
	v_sub_f32_e32 v32, v44, v33
	v_dual_sub_f32 v2, v23, v35 :: v_dual_sub_f32 v1, v38, v16
	v_sub_f32_e32 v29, v41, v40
	ds_store_2addr_b64 v17, v[14:15], v[11:12] offset1:16
	ds_store_2addr_b64 v17, v[9:10], v[7:8] offset0:32 offset1:48
	ds_store_2addr_b64 v17, v[5:6], v[3:4] offset0:64 offset1:80
	;; [unrolled: 1-line block ×4, first 2 shown]
.LBB0_36:
	s_or_b32 exec_lo, exec_lo, s1
	s_or_b32 s0, s3, vcc_lo
	s_waitcnt vmcnt(0) lgkmcnt(0)
	s_barrier
	buffer_gl0_inv
	s_and_saveexec_b32 s1, s0
	s_cbranch_execz .LBB0_38
; %bb.37:
	v_mul_hi_u32 v1, 0x1999999a, v26
	v_mul_hi_u32 v17, 0x199999a, v0
	v_mul_lo_u32 v59, v13, -10
	v_mul_lo_u32 v0, s18, v25
	v_lshlrev_b32_e32 v16, 7, v26
	v_mul_u32_u24_e32 v1, 10, v1
	v_mul_u32_u24_e32 v35, 0x50, v17
	s_delay_alu instid0(VALU_DEP_3) | instskip(SKIP_1) | instid1(VALU_DEP_4)
	v_add3_u32 v16, 0, v16, v22
	v_mov_b32_e32 v34, 0
	v_sub_nc_u32_e32 v33, v26, v1
	s_delay_alu instid0(VALU_DEP_3) | instskip(SKIP_2) | instid1(VALU_DEP_4)
	v_add_nc_u32_e32 v25, 0x800, v16
	v_add_nc_u32_e32 v20, 0x1400, v16
	v_add_nc_u32_e32 v29, 0x1c00, v16
	v_mul_u32_u24_e32 v1, 7, v33
	v_add_nc_u32_e32 v36, 0x46, v33
	v_or_b32_e32 v35, v35, v33
	v_mul_lo_u32 v33, v33, v13
	s_delay_alu instid0(VALU_DEP_4) | instskip(NEXT) | instid1(VALU_DEP_4)
	v_lshlrev_b32_e32 v14, 3, v1
	v_mul_lo_u32 v13, v36, v13
	s_delay_alu instid0(VALU_DEP_4)
	v_mul_lo_u32 v36, s16, v35
	v_add_nc_u32_e32 v37, 10, v35
	v_add_nc_u32_e32 v38, 20, v35
	s_clause 0x3
	global_load_b128 v[1:4], v14, s[24:25] offset:16
	global_load_b128 v[9:12], v14, s[24:25]
	global_load_b128 v[5:8], v14, s[24:25] offset:32
	global_load_b64 v[14:15], v14, s[24:25] offset:48
	s_load_b64 s[0:1], s[4:5], 0x0
	v_add_nc_u32_e32 v39, 30, v35
	v_add_nc_u32_e32 v40, 40, v35
	;; [unrolled: 1-line block ×5, first 2 shown]
	v_mul_lo_u32 v37, s16, v37
	v_lshrrev_b32_e32 v43, 9, v33
	v_mul_lo_u32 v46, s16, v38
	v_mul_lo_u32 v47, s16, v39
	v_mul_lo_u32 v73, s16, v35
	v_lshrrev_b32_e32 v35, 9, v13
	v_and_b32_e32 v38, 63, v13
	v_lshrrev_b32_e32 v39, 3, v13
	v_add_nc_u32_e32 v13, v13, v59
	v_and_b32_e32 v44, 63, v33
	v_lshrrev_b32_e32 v45, 3, v33
	v_mul_lo_u32 v51, s16, v40
	v_and_b32_e32 v40, 0x1f8, v43
	v_lshl_add_u32 v43, v38, 3, 0
	s_waitcnt lgkmcnt(0)
	s_mul_i32 s0, s0, s2
	v_and_b32_e32 v38, 0x1f8, v39
	v_add_nc_u32_e32 v24, s0, v24
	v_lshrrev_b32_e32 v39, 9, v13
	v_mul_lo_u32 v61, s16, v41
	v_mul_lo_u32 v71, s16, v42
	v_lshl_add_u32 v83, v44, 3, 0
	v_add3_u32 v33, v0, v36, v24
	v_and_b32_e32 v41, 0x1f8, v45
	v_and_b32_e32 v42, 0x1f8, v35
	;; [unrolled: 1-line block ×3, first 2 shown]
	v_lshrrev_b32_e32 v45, 3, v13
	v_add_nc_u32_e32 v13, v13, v59
	v_lshlrev_b64 v[35:36], 3, v[33:34]
	v_add3_u32 v33, v0, v37, v24
	s_add_i32 s1, 0, 0x2800
	v_and_b32_e32 v39, 0x1f8, v39
	ds_load_2addr_b64 v[16:19], v16 offset1:160
	ds_load_2addr_b64 v[20:23], v20 offset1:160
	ds_load_2addr_b64 v[25:28], v25 offset0:64 offset1:224
	ds_load_2addr_b64 v[29:32], v29 offset0:64 offset1:224
	v_add_nc_u32_e32 v81, s1, v40
	v_add_nc_u32_e32 v85, s1, v41
	;; [unrolled: 1-line block ×4, first 2 shown]
	v_lshl_add_u32 v52, v44, 3, 0
	v_and_b32_e32 v40, 0x1f8, v45
	v_lshrrev_b32_e32 v42, 9, v13
	v_and_b32_e32 v44, 63, v13
	v_lshrrev_b32_e32 v45, 3, v13
	v_lshlrev_b64 v[37:38], 3, v[33:34]
	v_add3_u32 v33, v0, v46, v24
	v_add_nc_u32_e32 v13, v13, v59
	v_add_nc_u32_e32 v49, s1, v39
	;; [unrolled: 1-line block ×3, first 2 shown]
	v_and_b32_e32 v50, 0x1f8, v42
	v_lshl_add_u32 v57, v44, 3, 0
	v_and_b32_e32 v54, 0x1f8, v45
	v_lshlrev_b64 v[39:40], 3, v[33:34]
	v_add3_u32 v33, v0, v47, v24
	ds_load_b64 v[41:42], v41 offset:1024
	ds_load_b64 v[43:44], v43 offset:10240
	;; [unrolled: 1-line block ×4, first 2 shown]
	v_lshrrev_b32_e32 v55, 9, v13
	v_and_b32_e32 v56, 63, v13
	v_lshrrev_b32_e32 v58, 3, v13
	v_add_nc_u32_e32 v13, v13, v59
	v_add_nc_u32_e32 v60, s1, v50
	;; [unrolled: 1-line block ×3, first 2 shown]
	v_and_b32_e32 v63, 0x1f8, v55
	v_lshl_add_u32 v65, v56, 3, 0
	v_lshrrev_b32_e32 v66, 9, v13
	v_and_b32_e32 v67, 63, v13
	v_lshrrev_b32_e32 v68, 3, v13
	v_add_nc_u32_e32 v13, v13, v59
	v_and_b32_e32 v64, 0x1f8, v58
	v_lshlrev_b64 v[49:50], 3, v[33:34]
	v_add3_u32 v33, v0, v51, v24
	ds_load_b64 v[51:52], v52 offset:10240
	ds_load_b64 v[53:54], v53 offset:512
	;; [unrolled: 1-line block ×4, first 2 shown]
	v_and_b32_e32 v72, 0x1f8, v68
	v_lshrrev_b32_e32 v75, 9, v13
	v_and_b32_e32 v70, 0x1f8, v66
	v_and_b32_e32 v76, 63, v13
	v_lshrrev_b32_e32 v77, 3, v13
	v_add_nc_u32_e32 v13, v13, v59
	v_lshlrev_b64 v[59:60], 3, v[33:34]
	v_add3_u32 v33, v0, v61, v24
	v_add_nc_u32_e32 v63, s1, v63
	v_add_nc_u32_e32 v69, s1, v64
	;; [unrolled: 1-line block ×3, first 2 shown]
	v_and_b32_e32 v72, 0x1f8, v75
	v_lshl_add_u32 v74, v67, 3, 0
	ds_load_b64 v[61:62], v62 offset:512
	ds_load_b64 v[63:64], v63 offset:1024
	ds_load_b64 v[65:66], v65 offset:10240
	ds_load_b64 v[67:68], v69 offset:512
	v_add_nc_u32_e32 v78, s1, v70
	v_lshl_add_u32 v80, v76, 3, 0
	v_and_b32_e32 v75, 0x1f8, v77
	v_lshrrev_b32_e32 v76, 9, v13
	v_lshlrev_b64 v[69:70], 3, v[33:34]
	v_add3_u32 v33, v0, v71, v24
	s_waitcnt lgkmcnt(9)
	v_mul_f32_e32 v82, v44, v46
	v_mul_f32_e32 v84, v43, v46
	v_add_nc_u32_e32 v86, s1, v72
	v_add_nc_u32_e32 v87, s1, v75
	v_and_b32_e32 v88, 0x1f8, v76
	v_lshlrev_b64 v[71:72], 3, v[33:34]
	v_add3_u32 v33, v0, v73, v24
	v_fma_f32 v0, v43, v45, -v82
	v_fmac_f32_e32 v84, v44, v45
	ds_load_b64 v[43:44], v78 offset:1024
	ds_load_b64 v[45:46], v74 offset:10240
	ds_load_b64 v[73:74], v79 offset:512
	ds_load_b64 v[75:76], v86 offset:1024
	v_and_b32_e32 v77, 63, v13
	v_lshrrev_b32_e32 v13, 3, v13
	s_waitcnt lgkmcnt(10)
	v_mul_f32_e32 v24, v52, v54
	v_mul_f32_e32 v90, v51, v54
	;; [unrolled: 1-line block ×3, first 2 shown]
	v_lshl_add_u32 v89, v77, 3, 0
	v_add_nc_u32_e32 v77, s1, v88
	v_fma_f32 v24, v51, v53, -v24
	v_fmac_f32_e32 v90, v52, v53
	ds_load_b64 v[51:52], v80 offset:10240
	ds_load_b64 v[53:54], v87 offset:512
	;; [unrolled: 1-line block ×4, first 2 shown]
	v_dual_mul_f32 v88, v0, v42 :: v_dual_and_b32 v13, 0x1f8, v13
	s_waitcnt lgkmcnt(11)
	v_mul_f32_e32 v91, v58, v62
	v_mul_f32_e32 v62, v57, v62
	v_fma_f32 v87, v41, v0, -v82
	v_dual_fmac_f32 v88, v41, v84 :: v_dual_add_nc_u32 v13, s1, v13
	ds_load_b64 v[41:42], v13 offset:512
	ds_load_b64 v[81:82], v81 offset:1024
	;; [unrolled: 1-line block ×4, first 2 shown]
	v_mul_f32_e32 v0, v90, v48
	v_mul_f32_e32 v13, v24, v48
	v_fma_f32 v48, v57, v61, -v91
	v_fmac_f32_e32 v62, v58, v61
	s_waitcnt lgkmcnt(12)
	v_mul_f32_e32 v57, v66, v68
	v_mul_f32_e32 v58, v65, v68
	v_fma_f32 v24, v47, v24, -v0
	v_dual_fmac_f32 v13, v47, v90 :: v_dual_mul_f32 v0, v62, v56
	v_mul_f32_e32 v47, v48, v56
	v_fma_f32 v56, v65, v67, -v57
	v_fmac_f32_e32 v58, v66, v67
	s_waitcnt lgkmcnt(9)
	v_mul_f32_e32 v57, v46, v74
	v_fma_f32 v48, v55, v48, -v0
	v_fmac_f32_e32 v47, v55, v62
	v_mul_f32_e32 v55, v56, v64
	v_dual_mul_f32 v0, v58, v64 :: v_dual_mul_f32 v61, v45, v74
	v_fma_f32 v45, v45, v73, -v57
	v_add_co_u32 v35, vcc_lo, s14, v35
	s_delay_alu instid0(VALU_DEP_3)
	v_fma_f32 v56, v63, v56, -v0
	v_fmac_f32_e32 v55, v63, v58
	s_waitcnt lgkmcnt(6)
	v_dual_fmac_f32 v61, v46, v73 :: v_dual_mul_f32 v46, v52, v54
	v_mul_f32_e32 v54, v51, v54
	v_add_co_ci_u32_e32 v36, vcc_lo, s15, v36, vcc_lo
	s_delay_alu instid0(VALU_DEP_3)
	v_mul_f32_e32 v0, v61, v44
	v_mul_f32_e32 v44, v45, v44
	v_fma_f32 v46, v51, v53, -v46
	v_fmac_f32_e32 v54, v52, v53
	s_waitcnt lgkmcnt(3)
	v_mul_f32_e32 v51, v80, v42
	v_mul_f32_e32 v42, v79, v42
	s_waitcnt lgkmcnt(0)
	v_mul_f32_e32 v53, v83, v86
	v_fmac_f32_e32 v44, v43, v61
	v_mul_f32_e32 v52, v84, v86
	v_fma_f32 v45, v43, v45, -v0
	v_mul_f32_e32 v0, v54, v76
	v_fmac_f32_e32 v42, v80, v41
	v_fma_f32 v41, v79, v41, -v51
	v_fmac_f32_e32 v53, v85, v84
	v_mul_f32_e32 v43, v46, v76
	v_fma_f32 v51, v83, v85, -v52
	v_fma_f32 v46, v75, v46, -v0
	v_mul_f32_e32 v0, v42, v78
	v_dual_mul_f32 v52, v41, v78 :: v_dual_mul_f32 v57, v82, v53
	s_delay_alu instid0(VALU_DEP_4) | instskip(NEXT) | instid1(VALU_DEP_3)
	v_dual_fmac_f32 v43, v75, v54 :: v_dual_mul_f32 v54, v82, v51
	v_fma_f32 v41, v77, v41, -v0
	v_add_co_u32 v37, vcc_lo, s14, v37
	v_add_co_ci_u32_e32 v38, vcc_lo, s15, v38, vcc_lo
	s_delay_alu instid0(VALU_DEP_4)
	v_fmac_f32_e32 v54, v81, v53
	v_add_co_u32 v39, vcc_lo, s14, v39
	v_add_co_ci_u32_e32 v40, vcc_lo, s15, v40, vcc_lo
	v_add_co_u32 v49, vcc_lo, s14, v49
	v_add_co_ci_u32_e32 v50, vcc_lo, s15, v50, vcc_lo
	;; [unrolled: 2-line block ×3, first 2 shown]
	v_add_co_u32 v69, vcc_lo, s14, v69
	v_lshlrev_b64 v[33:34], 3, v[33:34]
	v_add_co_ci_u32_e32 v70, vcc_lo, s15, v70, vcc_lo
	v_add_co_u32 v71, vcc_lo, s14, v71
	v_add_co_ci_u32_e32 v72, vcc_lo, s15, v72, vcc_lo
	s_delay_alu instid0(VALU_DEP_4)
	v_add_co_u32 v33, vcc_lo, s14, v33
	v_add_co_ci_u32_e32 v34, vcc_lo, s15, v34, vcc_lo
	s_waitcnt vmcnt(3)
	v_mul_f32_e32 v62, v2, v28
	v_mul_f32_e32 v2, v2, v27
	s_waitcnt vmcnt(1)
	v_mul_f32_e32 v61, v6, v22
	s_waitcnt vmcnt(0)
	v_mul_f32_e32 v63, v32, v15
	v_mul_f32_e32 v15, v31, v15
	v_fmac_f32_e32 v62, v1, v27
	v_fma_f32 v1, v1, v28, -v2
	v_mul_f32_e32 v6, v6, v23
	v_mul_f32_e32 v0, v4, v20
	v_fma_f32 v2, v32, v14, -v15
	v_dual_mul_f32 v4, v4, v21 :: v_dual_fmac_f32 v63, v31, v14
	s_delay_alu instid0(VALU_DEP_4) | instskip(NEXT) | instid1(VALU_DEP_4)
	v_fmac_f32_e32 v6, v5, v22
	v_fma_f32 v0, v3, v21, -v0
	s_delay_alu instid0(VALU_DEP_4) | instskip(SKIP_2) | instid1(VALU_DEP_4)
	v_sub_f32_e32 v2, v1, v2
	v_fma_f32 v21, v5, v23, -v61
	v_fmac_f32_e32 v4, v3, v20
	v_sub_f32_e32 v0, v17, v0
	s_delay_alu instid0(VALU_DEP_4) | instskip(SKIP_4) | instid1(VALU_DEP_4)
	v_fma_f32 v1, v1, 2.0, -v2
	v_mul_f32_e32 v58, v10, v18
	v_mul_f32_e32 v10, v10, v19
	v_sub_f32_e32 v4, v16, v4
	v_fma_f32 v17, v17, 2.0, -v0
	v_fma_f32 v19, v9, v19, -v58
	s_delay_alu instid0(VALU_DEP_4) | instskip(NEXT) | instid1(VALU_DEP_1)
	v_dual_fmac_f32 v10, v9, v18 :: v_dual_sub_f32 v9, v62, v63
	v_sub_f32_e32 v6, v10, v6
	s_delay_alu instid0(VALU_DEP_1)
	v_add_f32_e32 v14, v6, v2
	v_fmac_f32_e32 v52, v77, v42
	v_fma_f32 v42, v81, v51, -v57
	v_mul_f32_e32 v51, v12, v26
	v_dual_mul_f32 v57, v30, v8 :: v_dual_mul_f32 v12, v12, v25
	v_mul_f32_e32 v8, v8, v29
	s_delay_alu instid0(VALU_DEP_3) | instskip(NEXT) | instid1(VALU_DEP_3)
	v_fmac_f32_e32 v51, v11, v25
	v_fmac_f32_e32 v57, v7, v29
	s_delay_alu instid0(VALU_DEP_4) | instskip(NEXT) | instid1(VALU_DEP_4)
	v_fma_f32 v3, v11, v26, -v12
	v_fma_f32 v5, v30, v7, -v8
	v_sub_f32_e32 v8, v19, v21
	s_delay_alu instid0(VALU_DEP_4) | instskip(NEXT) | instid1(VALU_DEP_3)
	v_sub_f32_e32 v7, v51, v57
	v_sub_f32_e32 v5, v3, v5
	s_delay_alu instid0(VALU_DEP_3) | instskip(SKIP_1) | instid1(VALU_DEP_4)
	v_sub_f32_e32 v12, v8, v9
	v_fma_f32 v9, v62, 2.0, -v9
	v_sub_f32_e32 v11, v0, v7
	v_fma_f32 v7, v51, 2.0, -v7
	v_add_f32_e32 v15, v4, v5
	v_fma_f32 v3, v3, 2.0, -v5
	v_fma_f32 v5, v10, 2.0, -v6
	;; [unrolled: 1-line block ×4, first 2 shown]
	v_fmamk_f32 v18, v12, 0x3f3504f3, v11
	v_fmamk_f32 v19, v14, 0x3f3504f3, v15
	v_sub_f32_e32 v3, v17, v3
	v_dual_sub_f32 v2, v5, v9 :: v_dual_sub_f32 v7, v10, v7
	v_sub_f32_e32 v1, v16, v1
	v_fma_f32 v9, v0, 2.0, -v11
	v_fma_f32 v8, v8, 2.0, -v12
	;; [unrolled: 1-line block ×4, first 2 shown]
	v_fmac_f32_e32 v18, 0xbf3504f3, v14
	v_dual_fmac_f32 v19, 0x3f3504f3, v12 :: v_dual_sub_f32 v4, v3, v2
	v_add_f32_e32 v12, v7, v1
	s_delay_alu instid0(VALU_DEP_4)
	v_dual_fmamk_f32 v14, v8, 0xbf3504f3, v9 :: v_dual_fmamk_f32 v21, v6, 0xbf3504f3, v20
	v_fma_f32 v17, v17, 2.0, -v3
	v_fma_f32 v1, v16, 2.0, -v1
	v_fma_f32 v16, v10, 2.0, -v7
	v_fma_f32 v5, v5, 2.0, -v2
	v_mul_f32_e32 v22, v12, v13
	v_mul_f32_e32 v2, v4, v13
	v_fmac_f32_e32 v14, 0xbf3504f3, v6
	v_fmac_f32_e32 v21, 0x3f3504f3, v8
	v_sub_f32_e32 v13, v17, v1
	v_sub_f32_e32 v23, v16, v5
	v_fma_f32 v25, v15, 2.0, -v19
	s_delay_alu instid0(VALU_DEP_4)
	v_dual_mul_f32 v0, v18, v88 :: v_dual_mul_f32 v5, v21, v47
	v_mul_f32_e32 v10, v19, v88
	v_fma_f32 v11, v11, 2.0, -v18
	v_fma_f32 v15, v3, 2.0, -v4
	;; [unrolled: 1-line block ×3, first 2 shown]
	v_fma_f32 v3, v4, v24, -v22
	v_fmac_f32_e32 v2, v12, v24
	v_mul_f32_e32 v4, v14, v47
	v_dual_mul_f32 v7, v23, v55 :: v_dual_mul_f32 v12, v25, v44
	v_fma_f32 v20, v20, 2.0, -v21
	v_fma_f32 v17, v17, 2.0, -v13
	v_fma_f32 v16, v16, 2.0, -v23
	v_fmac_f32_e32 v0, v19, v87
	v_fma_f32 v19, v9, 2.0, -v14
	v_fma_f32 v1, v18, v87, -v10
	v_mul_f32_e32 v6, v13, v55
	v_mul_f32_e32 v18, v26, v43
	v_fmac_f32_e32 v4, v21, v48
	v_fma_f32 v7, v13, v56, -v7
	v_fma_f32 v9, v11, v45, -v12
	v_mul_f32_e32 v13, v52, v20
	v_mul_f32_e32 v21, v16, v54
	;; [unrolled: 1-line block ×3, first 2 shown]
	v_fma_f32 v5, v14, v48, -v5
	v_mul_f32_e32 v14, v52, v19
	v_mul_f32_e32 v10, v15, v43
	;; [unrolled: 1-line block ×3, first 2 shown]
	v_fma_f32 v11, v15, v46, -v18
	v_fma_f32 v15, v41, v19, -v13
	;; [unrolled: 1-line block ×3, first 2 shown]
	v_fmac_f32_e32 v12, v16, v42
	v_fmac_f32_e32 v14, v41, v20
	v_fmac_f32_e32 v10, v26, v46
	v_fmac_f32_e32 v8, v25, v45
	v_fmac_f32_e32 v6, v23, v56
	s_clause 0x7
	global_store_b64 v[35:36], v[12:13], off
	global_store_b64 v[37:38], v[14:15], off
	;; [unrolled: 1-line block ×8, first 2 shown]
.LBB0_38:
	s_nop 0
	s_sendmsg sendmsg(MSG_DEALLOC_VGPRS)
	s_endpgm
	.section	.rodata,"a",@progbits
	.p2align	6, 0x0
	.amdhsa_kernel fft_rtc_back_len80_factors_10_8_wgs_160_tpt_10_sp_op_CI_CI_sbcc_twdbase6_3step_dirReg_intrinsicReadWrite
		.amdhsa_group_segment_fixed_size 0
		.amdhsa_private_segment_fixed_size 0
		.amdhsa_kernarg_size 112
		.amdhsa_user_sgpr_count 15
		.amdhsa_user_sgpr_dispatch_ptr 0
		.amdhsa_user_sgpr_queue_ptr 0
		.amdhsa_user_sgpr_kernarg_segment_ptr 1
		.amdhsa_user_sgpr_dispatch_id 0
		.amdhsa_user_sgpr_private_segment_size 0
		.amdhsa_wavefront_size32 1
		.amdhsa_uses_dynamic_stack 0
		.amdhsa_enable_private_segment 0
		.amdhsa_system_sgpr_workgroup_id_x 1
		.amdhsa_system_sgpr_workgroup_id_y 0
		.amdhsa_system_sgpr_workgroup_id_z 0
		.amdhsa_system_sgpr_workgroup_info 0
		.amdhsa_system_vgpr_workitem_id 0
		.amdhsa_next_free_vgpr 92
		.amdhsa_next_free_sgpr 50
		.amdhsa_reserve_vcc 1
		.amdhsa_float_round_mode_32 0
		.amdhsa_float_round_mode_16_64 0
		.amdhsa_float_denorm_mode_32 3
		.amdhsa_float_denorm_mode_16_64 3
		.amdhsa_dx10_clamp 1
		.amdhsa_ieee_mode 1
		.amdhsa_fp16_overflow 0
		.amdhsa_workgroup_processor_mode 1
		.amdhsa_memory_ordered 1
		.amdhsa_forward_progress 0
		.amdhsa_shared_vgpr_count 0
		.amdhsa_exception_fp_ieee_invalid_op 0
		.amdhsa_exception_fp_denorm_src 0
		.amdhsa_exception_fp_ieee_div_zero 0
		.amdhsa_exception_fp_ieee_overflow 0
		.amdhsa_exception_fp_ieee_underflow 0
		.amdhsa_exception_fp_ieee_inexact 0
		.amdhsa_exception_int_div_zero 0
	.end_amdhsa_kernel
	.text
.Lfunc_end0:
	.size	fft_rtc_back_len80_factors_10_8_wgs_160_tpt_10_sp_op_CI_CI_sbcc_twdbase6_3step_dirReg_intrinsicReadWrite, .Lfunc_end0-fft_rtc_back_len80_factors_10_8_wgs_160_tpt_10_sp_op_CI_CI_sbcc_twdbase6_3step_dirReg_intrinsicReadWrite
                                        ; -- End function
	.section	.AMDGPU.csdata,"",@progbits
; Kernel info:
; codeLenInByte = 6000
; NumSgprs: 52
; NumVgprs: 92
; ScratchSize: 0
; MemoryBound: 0
; FloatMode: 240
; IeeeMode: 1
; LDSByteSize: 0 bytes/workgroup (compile time only)
; SGPRBlocks: 6
; VGPRBlocks: 11
; NumSGPRsForWavesPerEU: 52
; NumVGPRsForWavesPerEU: 92
; Occupancy: 15
; WaveLimiterHint : 1
; COMPUTE_PGM_RSRC2:SCRATCH_EN: 0
; COMPUTE_PGM_RSRC2:USER_SGPR: 15
; COMPUTE_PGM_RSRC2:TRAP_HANDLER: 0
; COMPUTE_PGM_RSRC2:TGID_X_EN: 1
; COMPUTE_PGM_RSRC2:TGID_Y_EN: 0
; COMPUTE_PGM_RSRC2:TGID_Z_EN: 0
; COMPUTE_PGM_RSRC2:TIDIG_COMP_CNT: 0
	.text
	.p2alignl 7, 3214868480
	.fill 96, 4, 3214868480
	.type	__hip_cuid_dc8787607300415f,@object ; @__hip_cuid_dc8787607300415f
	.section	.bss,"aw",@nobits
	.globl	__hip_cuid_dc8787607300415f
__hip_cuid_dc8787607300415f:
	.byte	0                               ; 0x0
	.size	__hip_cuid_dc8787607300415f, 1

	.ident	"AMD clang version 19.0.0git (https://github.com/RadeonOpenCompute/llvm-project roc-6.4.0 25133 c7fe45cf4b819c5991fe208aaa96edf142730f1d)"
	.section	".note.GNU-stack","",@progbits
	.addrsig
	.addrsig_sym __hip_cuid_dc8787607300415f
	.amdgpu_metadata
---
amdhsa.kernels:
  - .args:
      - .actual_access:  read_only
        .address_space:  global
        .offset:         0
        .size:           8
        .value_kind:     global_buffer
      - .address_space:  global
        .offset:         8
        .size:           8
        .value_kind:     global_buffer
      - .offset:         16
        .size:           8
        .value_kind:     by_value
      - .actual_access:  read_only
        .address_space:  global
        .offset:         24
        .size:           8
        .value_kind:     global_buffer
      - .actual_access:  read_only
        .address_space:  global
        .offset:         32
        .size:           8
        .value_kind:     global_buffer
      - .actual_access:  read_only
        .address_space:  global
        .offset:         40
        .size:           8
        .value_kind:     global_buffer
      - .offset:         48
        .size:           8
        .value_kind:     by_value
      - .actual_access:  read_only
        .address_space:  global
        .offset:         56
        .size:           8
        .value_kind:     global_buffer
      - .actual_access:  read_only
        .address_space:  global
        .offset:         64
        .size:           8
        .value_kind:     global_buffer
      - .offset:         72
        .size:           4
        .value_kind:     by_value
      - .actual_access:  read_only
        .address_space:  global
        .offset:         80
        .size:           8
        .value_kind:     global_buffer
      - .actual_access:  read_only
        .address_space:  global
        .offset:         88
        .size:           8
        .value_kind:     global_buffer
      - .actual_access:  read_only
        .address_space:  global
        .offset:         96
        .size:           8
        .value_kind:     global_buffer
      - .actual_access:  write_only
        .address_space:  global
        .offset:         104
        .size:           8
        .value_kind:     global_buffer
    .group_segment_fixed_size: 0
    .kernarg_segment_align: 8
    .kernarg_segment_size: 112
    .language:       OpenCL C
    .language_version:
      - 2
      - 0
    .max_flat_workgroup_size: 160
    .name:           fft_rtc_back_len80_factors_10_8_wgs_160_tpt_10_sp_op_CI_CI_sbcc_twdbase6_3step_dirReg_intrinsicReadWrite
    .private_segment_fixed_size: 0
    .sgpr_count:     52
    .sgpr_spill_count: 0
    .symbol:         fft_rtc_back_len80_factors_10_8_wgs_160_tpt_10_sp_op_CI_CI_sbcc_twdbase6_3step_dirReg_intrinsicReadWrite.kd
    .uniform_work_group_size: 1
    .uses_dynamic_stack: false
    .vgpr_count:     92
    .vgpr_spill_count: 0
    .wavefront_size: 32
    .workgroup_processor_mode: 1
amdhsa.target:   amdgcn-amd-amdhsa--gfx1100
amdhsa.version:
  - 1
  - 2
...

	.end_amdgpu_metadata
